;; amdgpu-corpus repo=ROCm/rocFFT kind=compiled arch=gfx906 opt=O3
	.text
	.amdgcn_target "amdgcn-amd-amdhsa--gfx906"
	.amdhsa_code_object_version 6
	.protected	fft_rtc_fwd_len1820_factors_10_13_7_2_wgs_182_tpt_182_halfLds_sp_op_CI_CI_unitstride_sbrr_R2C_dirReg ; -- Begin function fft_rtc_fwd_len1820_factors_10_13_7_2_wgs_182_tpt_182_halfLds_sp_op_CI_CI_unitstride_sbrr_R2C_dirReg
	.globl	fft_rtc_fwd_len1820_factors_10_13_7_2_wgs_182_tpt_182_halfLds_sp_op_CI_CI_unitstride_sbrr_R2C_dirReg
	.p2align	8
	.type	fft_rtc_fwd_len1820_factors_10_13_7_2_wgs_182_tpt_182_halfLds_sp_op_CI_CI_unitstride_sbrr_R2C_dirReg,@function
fft_rtc_fwd_len1820_factors_10_13_7_2_wgs_182_tpt_182_halfLds_sp_op_CI_CI_unitstride_sbrr_R2C_dirReg: ; @fft_rtc_fwd_len1820_factors_10_13_7_2_wgs_182_tpt_182_halfLds_sp_op_CI_CI_unitstride_sbrr_R2C_dirReg
; %bb.0:
	s_load_dwordx4 s[8:11], s[4:5], 0x58
	s_load_dwordx4 s[12:15], s[4:5], 0x0
	;; [unrolled: 1-line block ×3, first 2 shown]
	v_mul_u32_u24_e32 v1, 0x169, v0
	v_add_u32_sdwa v5, s6, v1 dst_sel:DWORD dst_unused:UNUSED_PAD src0_sel:DWORD src1_sel:WORD_1
	v_mov_b32_e32 v3, 0
	s_waitcnt lgkmcnt(0)
	v_cmp_lt_u64_e64 s[0:1], s[14:15], 2
	v_mov_b32_e32 v1, 0
	v_mov_b32_e32 v6, v3
	s_and_b64 vcc, exec, s[0:1]
	v_mov_b32_e32 v2, 0
	s_cbranch_vccnz .LBB0_8
; %bb.1:
	s_load_dwordx2 s[0:1], s[4:5], 0x10
	s_add_u32 s2, s18, 8
	s_addc_u32 s3, s19, 0
	s_add_u32 s6, s16, 8
	v_mov_b32_e32 v1, 0
	s_addc_u32 s7, s17, 0
	v_mov_b32_e32 v2, 0
	s_waitcnt lgkmcnt(0)
	s_add_u32 s20, s0, 8
	v_mov_b32_e32 v25, v2
	s_addc_u32 s21, s1, 0
	s_mov_b64 s[22:23], 1
	v_mov_b32_e32 v24, v1
.LBB0_2:                                ; =>This Inner Loop Header: Depth=1
	s_load_dwordx2 s[24:25], s[20:21], 0x0
                                        ; implicit-def: $vgpr26_vgpr27
	s_waitcnt lgkmcnt(0)
	v_or_b32_e32 v4, s25, v6
	v_cmp_ne_u64_e32 vcc, 0, v[3:4]
	s_and_saveexec_b64 s[0:1], vcc
	s_xor_b64 s[26:27], exec, s[0:1]
	s_cbranch_execz .LBB0_4
; %bb.3:                                ;   in Loop: Header=BB0_2 Depth=1
	v_cvt_f32_u32_e32 v4, s24
	v_cvt_f32_u32_e32 v7, s25
	s_sub_u32 s0, 0, s24
	s_subb_u32 s1, 0, s25
	v_mac_f32_e32 v4, 0x4f800000, v7
	v_rcp_f32_e32 v4, v4
	v_mul_f32_e32 v4, 0x5f7ffffc, v4
	v_mul_f32_e32 v7, 0x2f800000, v4
	v_trunc_f32_e32 v7, v7
	v_mac_f32_e32 v4, 0xcf800000, v7
	v_cvt_u32_f32_e32 v7, v7
	v_cvt_u32_f32_e32 v4, v4
	v_mul_lo_u32 v8, s0, v7
	v_mul_hi_u32 v9, s0, v4
	v_mul_lo_u32 v11, s1, v4
	v_mul_lo_u32 v10, s0, v4
	v_add_u32_e32 v8, v9, v8
	v_add_u32_e32 v8, v8, v11
	v_mul_hi_u32 v9, v4, v10
	v_mul_lo_u32 v11, v4, v8
	v_mul_hi_u32 v13, v4, v8
	v_mul_hi_u32 v12, v7, v10
	v_mul_lo_u32 v10, v7, v10
	v_mul_hi_u32 v14, v7, v8
	v_add_co_u32_e32 v9, vcc, v9, v11
	v_addc_co_u32_e32 v11, vcc, 0, v13, vcc
	v_mul_lo_u32 v8, v7, v8
	v_add_co_u32_e32 v9, vcc, v9, v10
	v_addc_co_u32_e32 v9, vcc, v11, v12, vcc
	v_addc_co_u32_e32 v10, vcc, 0, v14, vcc
	v_add_co_u32_e32 v8, vcc, v9, v8
	v_addc_co_u32_e32 v9, vcc, 0, v10, vcc
	v_add_co_u32_e32 v4, vcc, v4, v8
	v_addc_co_u32_e32 v7, vcc, v7, v9, vcc
	v_mul_lo_u32 v8, s0, v7
	v_mul_hi_u32 v9, s0, v4
	v_mul_lo_u32 v10, s1, v4
	v_mul_lo_u32 v11, s0, v4
	v_add_u32_e32 v8, v9, v8
	v_add_u32_e32 v8, v8, v10
	v_mul_lo_u32 v12, v4, v8
	v_mul_hi_u32 v13, v4, v11
	v_mul_hi_u32 v14, v4, v8
	v_mul_hi_u32 v10, v7, v11
	v_mul_lo_u32 v11, v7, v11
	v_mul_hi_u32 v9, v7, v8
	v_add_co_u32_e32 v12, vcc, v13, v12
	v_addc_co_u32_e32 v13, vcc, 0, v14, vcc
	v_mul_lo_u32 v8, v7, v8
	v_add_co_u32_e32 v11, vcc, v12, v11
	v_addc_co_u32_e32 v10, vcc, v13, v10, vcc
	v_addc_co_u32_e32 v9, vcc, 0, v9, vcc
	v_add_co_u32_e32 v8, vcc, v10, v8
	v_addc_co_u32_e32 v9, vcc, 0, v9, vcc
	v_add_co_u32_e32 v4, vcc, v4, v8
	v_addc_co_u32_e32 v9, vcc, v7, v9, vcc
	v_mad_u64_u32 v[7:8], s[0:1], v5, v9, 0
	v_mul_hi_u32 v10, v5, v4
	v_add_co_u32_e32 v11, vcc, v10, v7
	v_addc_co_u32_e32 v12, vcc, 0, v8, vcc
	v_mad_u64_u32 v[7:8], s[0:1], v6, v4, 0
	v_mad_u64_u32 v[9:10], s[0:1], v6, v9, 0
	v_add_co_u32_e32 v4, vcc, v11, v7
	v_addc_co_u32_e32 v4, vcc, v12, v8, vcc
	v_addc_co_u32_e32 v7, vcc, 0, v10, vcc
	v_add_co_u32_e32 v4, vcc, v4, v9
	v_addc_co_u32_e32 v9, vcc, 0, v7, vcc
	v_mul_lo_u32 v10, s25, v4
	v_mul_lo_u32 v11, s24, v9
	v_mad_u64_u32 v[7:8], s[0:1], s24, v4, 0
	v_add3_u32 v8, v8, v11, v10
	v_sub_u32_e32 v10, v6, v8
	v_mov_b32_e32 v11, s25
	v_sub_co_u32_e32 v7, vcc, v5, v7
	v_subb_co_u32_e64 v10, s[0:1], v10, v11, vcc
	v_subrev_co_u32_e64 v11, s[0:1], s24, v7
	v_subbrev_co_u32_e64 v10, s[0:1], 0, v10, s[0:1]
	v_cmp_le_u32_e64 s[0:1], s25, v10
	v_cndmask_b32_e64 v12, 0, -1, s[0:1]
	v_cmp_le_u32_e64 s[0:1], s24, v11
	v_cndmask_b32_e64 v11, 0, -1, s[0:1]
	v_cmp_eq_u32_e64 s[0:1], s25, v10
	v_cndmask_b32_e64 v10, v12, v11, s[0:1]
	v_add_co_u32_e64 v11, s[0:1], 2, v4
	v_addc_co_u32_e64 v12, s[0:1], 0, v9, s[0:1]
	v_add_co_u32_e64 v13, s[0:1], 1, v4
	v_addc_co_u32_e64 v14, s[0:1], 0, v9, s[0:1]
	v_subb_co_u32_e32 v8, vcc, v6, v8, vcc
	v_cmp_ne_u32_e64 s[0:1], 0, v10
	v_cmp_le_u32_e32 vcc, s25, v8
	v_cndmask_b32_e64 v10, v14, v12, s[0:1]
	v_cndmask_b32_e64 v12, 0, -1, vcc
	v_cmp_le_u32_e32 vcc, s24, v7
	v_cndmask_b32_e64 v7, 0, -1, vcc
	v_cmp_eq_u32_e32 vcc, s25, v8
	v_cndmask_b32_e32 v7, v12, v7, vcc
	v_cmp_ne_u32_e32 vcc, 0, v7
	v_cndmask_b32_e64 v7, v13, v11, s[0:1]
	v_cndmask_b32_e32 v27, v9, v10, vcc
	v_cndmask_b32_e32 v26, v4, v7, vcc
.LBB0_4:                                ;   in Loop: Header=BB0_2 Depth=1
	s_andn2_saveexec_b64 s[0:1], s[26:27]
	s_cbranch_execz .LBB0_6
; %bb.5:                                ;   in Loop: Header=BB0_2 Depth=1
	v_cvt_f32_u32_e32 v4, s24
	s_sub_i32 s26, 0, s24
	v_mov_b32_e32 v27, v3
	v_rcp_iflag_f32_e32 v4, v4
	v_mul_f32_e32 v4, 0x4f7ffffe, v4
	v_cvt_u32_f32_e32 v4, v4
	v_mul_lo_u32 v7, s26, v4
	v_mul_hi_u32 v7, v4, v7
	v_add_u32_e32 v4, v4, v7
	v_mul_hi_u32 v4, v5, v4
	v_mul_lo_u32 v7, v4, s24
	v_add_u32_e32 v8, 1, v4
	v_sub_u32_e32 v7, v5, v7
	v_subrev_u32_e32 v9, s24, v7
	v_cmp_le_u32_e32 vcc, s24, v7
	v_cndmask_b32_e32 v7, v7, v9, vcc
	v_cndmask_b32_e32 v4, v4, v8, vcc
	v_add_u32_e32 v8, 1, v4
	v_cmp_le_u32_e32 vcc, s24, v7
	v_cndmask_b32_e32 v26, v4, v8, vcc
.LBB0_6:                                ;   in Loop: Header=BB0_2 Depth=1
	s_or_b64 exec, exec, s[0:1]
	v_mul_lo_u32 v4, v27, s24
	v_mul_lo_u32 v9, v26, s25
	v_mad_u64_u32 v[7:8], s[0:1], v26, s24, 0
	s_load_dwordx2 s[0:1], s[6:7], 0x0
	s_load_dwordx2 s[24:25], s[2:3], 0x0
	v_add3_u32 v4, v8, v9, v4
	v_sub_co_u32_e32 v5, vcc, v5, v7
	v_subb_co_u32_e32 v4, vcc, v6, v4, vcc
	s_waitcnt lgkmcnt(0)
	v_mul_lo_u32 v6, s0, v4
	v_mul_lo_u32 v7, s1, v5
	v_mad_u64_u32 v[1:2], s[0:1], s0, v5, v[1:2]
	v_mul_lo_u32 v4, s24, v4
	v_mul_lo_u32 v8, s25, v5
	v_mad_u64_u32 v[24:25], s[0:1], s24, v5, v[24:25]
	s_add_u32 s22, s22, 1
	s_addc_u32 s23, s23, 0
	s_add_u32 s2, s2, 8
	v_add3_u32 v25, v8, v25, v4
	s_addc_u32 s3, s3, 0
	v_mov_b32_e32 v4, s14
	s_add_u32 s6, s6, 8
	v_mov_b32_e32 v5, s15
	s_addc_u32 s7, s7, 0
	v_cmp_ge_u64_e32 vcc, s[22:23], v[4:5]
	s_add_u32 s20, s20, 8
	v_add3_u32 v2, v7, v2, v6
	s_addc_u32 s21, s21, 0
	s_cbranch_vccnz .LBB0_9
; %bb.7:                                ;   in Loop: Header=BB0_2 Depth=1
	v_mov_b32_e32 v5, v26
	v_mov_b32_e32 v6, v27
	s_branch .LBB0_2
.LBB0_8:
	v_mov_b32_e32 v25, v2
	v_mov_b32_e32 v27, v6
	;; [unrolled: 1-line block ×4, first 2 shown]
.LBB0_9:
	s_load_dwordx2 s[4:5], s[4:5], 0x28
	s_lshl_b64 s[6:7], s[14:15], 3
	s_add_u32 s2, s18, s6
	s_addc_u32 s3, s19, s7
                                        ; implicit-def: $vgpr28
	s_waitcnt lgkmcnt(0)
	v_cmp_gt_u64_e64 s[0:1], s[4:5], v[26:27]
	v_cmp_le_u64_e32 vcc, s[4:5], v[26:27]
	s_and_saveexec_b64 s[4:5], vcc
	s_xor_b64 s[4:5], exec, s[4:5]
; %bb.10:
	s_mov_b32 s14, 0x1681682
	v_mul_hi_u32 v1, v0, s14
	v_mul_u32_u24_e32 v1, 0xb6, v1
	v_sub_u32_e32 v28, v0, v1
                                        ; implicit-def: $vgpr0
                                        ; implicit-def: $vgpr1_vgpr2
; %bb.11:
	s_andn2_saveexec_b64 s[4:5], s[4:5]
	s_cbranch_execz .LBB0_13
; %bb.12:
	s_add_u32 s6, s16, s6
	s_addc_u32 s7, s17, s7
	s_load_dwordx2 s[6:7], s[6:7], 0x0
	s_mov_b32 s14, 0x1681682
	v_mul_hi_u32 v5, v0, s14
	s_waitcnt lgkmcnt(0)
	v_mul_lo_u32 v6, s7, v26
	v_mul_lo_u32 v7, s6, v27
	v_mad_u64_u32 v[3:4], s[6:7], s6, v26, 0
	v_mul_u32_u24_e32 v5, 0xb6, v5
	v_sub_u32_e32 v28, v0, v5
	v_add3_u32 v4, v4, v7, v6
	v_lshlrev_b64 v[3:4], 3, v[3:4]
	v_mov_b32_e32 v0, s9
	v_add_co_u32_e32 v3, vcc, s8, v3
	v_addc_co_u32_e32 v4, vcc, v0, v4, vcc
	v_lshlrev_b64 v[0:1], 3, v[1:2]
	v_lshlrev_b32_e32 v29, 3, v28
	v_add_co_u32_e32 v0, vcc, v3, v0
	v_addc_co_u32_e32 v1, vcc, v4, v1, vcc
	v_add_co_u32_e32 v0, vcc, v0, v29
	v_addc_co_u32_e32 v1, vcc, 0, v1, vcc
	s_movk_i32 s6, 0x1000
	v_add_co_u32_e32 v2, vcc, s6, v0
	v_addc_co_u32_e32 v3, vcc, 0, v1, vcc
	v_add_co_u32_e32 v12, vcc, 0x2000, v0
	v_addc_co_u32_e32 v13, vcc, 0, v1, vcc
	global_load_dwordx2 v[4:5], v[0:1], off
	global_load_dwordx2 v[6:7], v[0:1], off offset:1456
	global_load_dwordx2 v[8:9], v[0:1], off offset:2912
	global_load_dwordx2 v[10:11], v[2:3], off offset:272
	v_add_co_u32_e32 v0, vcc, 0x3000, v0
	global_load_dwordx2 v[14:15], v[2:3], off offset:1728
	global_load_dwordx2 v[16:17], v[2:3], off offset:3184
	;; [unrolled: 1-line block ×4, first 2 shown]
	v_addc_co_u32_e32 v1, vcc, 0, v1, vcc
	global_load_dwordx2 v[2:3], v[12:13], off offset:3456
	global_load_dwordx2 v[22:23], v[0:1], off offset:816
	v_add_u32_e32 v0, 0, v29
	v_add_u32_e32 v1, 0xa00, v0
	;; [unrolled: 1-line block ×4, first 2 shown]
	s_waitcnt vmcnt(8)
	ds_write2_b64 v0, v[4:5], v[6:7] offset1:182
	s_waitcnt vmcnt(6)
	ds_write2_b64 v1, v[8:9], v[10:11] offset0:44 offset1:226
	s_waitcnt vmcnt(4)
	ds_write2_b64 v12, v[14:15], v[16:17] offset0:24 offset1:206
	;; [unrolled: 2-line block ×3, first 2 shown]
	v_add_u32_e32 v0, 0x2c00, v0
	s_waitcnt vmcnt(0)
	ds_write2_b64 v0, v[2:3], v[22:23] offset0:48 offset1:230
.LBB0_13:
	s_or_b64 exec, exec, s[4:5]
	v_lshl_add_u32 v35, v28, 3, 0
	v_add_u32_e32 v4, 0xa00, v35
	s_load_dwordx2 s[4:5], s[2:3], 0x0
	s_waitcnt lgkmcnt(0)
	s_barrier
	ds_read2_b64 v[0:3], v35 offset1:182
	ds_read2_b64 v[4:7], v4 offset0:44 offset1:226
	v_add_u32_e32 v8, 0x1600, v35
	ds_read2_b64 v[8:11], v8 offset0:24 offset1:206
	v_add_u32_e32 v20, 0x2000, v35
	s_mov_b32 s2, 0x3f737871
	s_waitcnt lgkmcnt(1)
	v_add_f32_e32 v16, v2, v6
	v_add_f32_e32 v12, v0, v4
	s_waitcnt lgkmcnt(0)
	v_add_f32_e32 v23, v16, v10
	v_add_f32_e32 v16, v3, v7
	;; [unrolled: 1-line block ×5, first 2 shown]
	v_add_u32_e32 v16, 0x2c00, v35
	v_add_f32_e32 v22, v12, v9
	ds_read2_b64 v[12:15], v20 offset0:68 offset1:250
	ds_read2_b64 v[16:19], v16 offset0:48 offset1:230
	v_sub_f32_e32 v32, v4, v8
	v_sub_f32_e32 v33, v8, v4
	;; [unrolled: 1-line block ×3, first 2 shown]
	s_waitcnt lgkmcnt(1)
	v_add_f32_e32 v30, v8, v12
	v_sub_f32_e32 v31, v9, v13
	v_add_f32_e32 v34, v9, v13
	v_sub_f32_e32 v38, v9, v5
	v_sub_f32_e32 v9, v11, v15
	v_add_f32_e32 v41, v11, v15
	v_sub_f32_e32 v42, v7, v11
	v_sub_f32_e32 v11, v11, v7
	s_waitcnt lgkmcnt(0)
	v_sub_f32_e32 v43, v5, v17
	v_add_f32_e32 v44, v4, v16
	v_sub_f32_e32 v45, v4, v16
	v_add_f32_e32 v4, v5, v17
	;; [unrolled: 2-line block ×3, first 2 shown]
	v_add_f32_e32 v7, v7, v19
	v_add_f32_e32 v21, v21, v12
	v_add_f32_e32 v29, v29, v15
	v_sub_f32_e32 v50, v19, v15
	v_sub_f32_e32 v15, v15, v19
	v_sub_f32_e32 v36, v8, v12
	v_add_f32_e32 v22, v22, v13
	v_sub_f32_e32 v47, v16, v12
	v_sub_f32_e32 v12, v12, v16
	v_add_f32_e32 v16, v21, v16
	v_fma_f32 v21, -0.5, v41, v3
	v_fmac_f32_e32 v3, -0.5, v7
	v_add_f32_e32 v7, v11, v15
	v_fma_f32 v11, -0.5, v30, v0
	v_fma_f32 v30, -0.5, v46, v2
	v_add_f32_e32 v8, v10, v14
	v_sub_f32_e32 v39, v6, v10
	v_sub_f32_e32 v40, v10, v6
	;; [unrolled: 1-line block ×3, first 2 shown]
	v_add_f32_e32 v23, v23, v14
	v_sub_f32_e32 v48, v17, v13
	v_sub_f32_e32 v13, v13, v17
	;; [unrolled: 1-line block ×4, first 2 shown]
	v_add_f32_e32 v17, v22, v17
	v_fma_f32 v22, -0.5, v34, v1
	v_mov_b32_e32 v34, v30
	v_fmac_f32_e32 v30, 0x3f737871, v9
	v_sub_f32_e32 v6, v6, v18
	v_add_f32_e32 v14, v40, v14
	v_fmac_f32_e32 v30, 0xbf167918, v5
	v_mov_b32_e32 v40, v3
	v_fmac_f32_e32 v3, 0xbf737871, v10
	v_fmac_f32_e32 v30, 0x3e9e377a, v14
	;; [unrolled: 1-line block ×3, first 2 shown]
	v_fma_f32 v15, -0.5, v44, v0
	v_fmac_f32_e32 v3, 0x3e9e377a, v7
	v_mul_f32_e32 v0, 0x3e9e377a, v30
	v_add_f32_e32 v18, v23, v18
	v_fma_f32 v23, -0.5, v4, v1
	v_fma_f32 v1, v3, s2, -v0
	v_mul_f32_e32 v41, 0x3e9e377a, v3
	v_mov_b32_e32 v3, v11
	v_add_f32_e32 v19, v29, v19
	v_fma_f32 v29, -0.5, v8, v2
	v_fmac_f32_e32 v3, 0x3f737871, v43
	v_fmac_f32_e32 v11, 0xbf737871, v43
	v_mov_b32_e32 v4, v15
	v_fmac_f32_e32 v40, 0x3f737871, v10
	v_add_f32_e32 v0, v32, v47
	v_fmac_f32_e32 v3, 0x3f167918, v31
	v_fmac_f32_e32 v11, 0xbf167918, v31
	;; [unrolled: 1-line block ×4, first 2 shown]
	v_mov_b32_e32 v31, v29
	v_fmac_f32_e32 v34, 0xbf737871, v9
	v_fmac_f32_e32 v40, 0xbf167918, v6
	;; [unrolled: 1-line block ×4, first 2 shown]
	v_add_f32_e32 v0, v33, v12
	v_fmac_f32_e32 v4, 0x3f167918, v43
	v_fmac_f32_e32 v15, 0xbf167918, v43
	v_fmac_f32_e32 v31, 0x3f737871, v5
	v_fmac_f32_e32 v29, 0xbf737871, v5
	v_fmac_f32_e32 v34, 0x3f167918, v5
	v_mov_b32_e32 v5, v21
	v_fmac_f32_e32 v40, 0x3e9e377a, v7
	v_fmac_f32_e32 v4, 0x3e9e377a, v0
	v_fmac_f32_e32 v15, 0x3e9e377a, v0
	v_add_f32_e32 v0, v39, v49
	v_fmac_f32_e32 v31, 0x3f167918, v9
	v_fmac_f32_e32 v29, 0xbf167918, v9
	;; [unrolled: 1-line block ×4, first 2 shown]
	v_mul_f32_e32 v7, 0x3f737871, v40
	v_fmac_f32_e32 v31, 0x3e9e377a, v0
	v_fmac_f32_e32 v29, 0x3e9e377a, v0
	v_add_f32_e32 v0, v42, v50
	v_fmac_f32_e32 v5, 0xbf167918, v10
	v_fmac_f32_e32 v21, 0x3f737871, v6
	;; [unrolled: 1-line block ×5, first 2 shown]
	v_mul_f32_e32 v6, 0x3f4f1bbd, v31
	v_sub_f32_e32 v10, v4, v7
	v_add_f32_e32 v4, v4, v7
	v_mul_f32_e32 v7, 0xbf167918, v31
	v_fmac_f32_e32 v6, 0x3f167918, v5
	v_fmac_f32_e32 v7, 0x3f4f1bbd, v5
	v_mov_b32_e32 v5, v22
	v_fmac_f32_e32 v5, 0xbf737871, v45
	v_fmac_f32_e32 v21, 0x3e9e377a, v0
	s_mov_b32 s2, 0x3f167918
	v_add_f32_e32 v0, v16, v18
	v_add_f32_e32 v2, v3, v6
	v_sub_f32_e32 v8, v3, v6
	v_add_f32_e32 v6, v15, v1
	v_mul_f32_e32 v3, 0x3f4f1bbd, v29
	v_sub_f32_e32 v14, v16, v18
	v_sub_f32_e32 v16, v15, v1
	v_add_f32_e32 v1, v17, v19
	v_sub_f32_e32 v15, v17, v19
	v_add_f32_e32 v19, v37, v48
	v_fmac_f32_e32 v5, 0xbf167918, v36
	v_fma_f32 v3, v21, s2, -v3
	v_fmac_f32_e32 v5, 0x3e9e377a, v19
	v_add_f32_e32 v12, v11, v3
	v_sub_f32_e32 v18, v11, v3
	v_add_f32_e32 v3, v5, v7
	v_sub_f32_e32 v9, v5, v7
	v_add_f32_e32 v7, v38, v13
	v_mov_b32_e32 v13, v23
	v_fmac_f32_e32 v13, 0x3f737871, v36
	v_mul_f32_e32 v11, 0xbf737871, v34
	v_fmac_f32_e32 v13, 0xbf167918, v45
	v_fmac_f32_e32 v23, 0xbf737871, v36
	;; [unrolled: 1-line block ×5, first 2 shown]
	s_mov_b32 s2, 0xbf737871
	v_add_f32_e32 v5, v13, v11
	v_sub_f32_e32 v11, v13, v11
	v_fmac_f32_e32 v23, 0x3e9e377a, v7
	v_fma_f32 v13, v30, s2, -v41
	v_fmac_f32_e32 v22, 0x3f737871, v45
	v_add_f32_e32 v7, v23, v13
	v_sub_f32_e32 v17, v23, v13
	v_fmac_f32_e32 v22, 0x3f167918, v36
	s_mov_b32 s2, 0xbf167918
	v_mul_f32_e32 v13, 0x3f4f1bbd, v21
	v_fmac_f32_e32 v22, 0x3e9e377a, v19
	v_fma_f32 v19, v29, s2, -v13
	s_movk_i32 s2, 0x48
	v_mad_u32_u24 v21, v28, s2, v35
	s_movk_i32 s2, 0x8c
	v_add_f32_e32 v13, v22, v19
	v_sub_f32_e32 v19, v22, v19
	v_cmp_gt_u32_e32 vcc, s2, v28
	s_barrier
	ds_write2_b64 v21, v[0:1], v[2:3] offset1:1
	ds_write2_b64 v21, v[4:5], v[6:7] offset0:2 offset1:3
	ds_write2_b64 v21, v[12:13], v[14:15] offset0:4 offset1:5
	;; [unrolled: 1-line block ×4, first 2 shown]
	s_waitcnt lgkmcnt(0)
	s_barrier
	s_waitcnt lgkmcnt(0)
                                        ; implicit-def: $vgpr30
                                        ; implicit-def: $vgpr23
	s_and_saveexec_b64 s[2:3], vcc
	s_cbranch_execz .LBB0_15
; %bb.14:
	v_add_u32_e32 v8, 0x1000, v35
	v_add_u32_e32 v4, 0x800, v35
	ds_read2_b64 v[12:15], v8 offset0:48 offset1:188
	v_add_u32_e32 v8, 0x1800, v35
	ds_read2_b64 v[0:3], v35 offset1:140
	ds_read2_b64 v[4:7], v4 offset0:24 offset1:164
	ds_read2_b64 v[8:11], v8 offset0:72 offset1:212
	;; [unrolled: 1-line block ×3, first 2 shown]
	v_add_u32_e32 v20, 0x2a00, v35
	ds_read2_b64 v[20:23], v20 offset0:56 offset1:196
	ds_read_b64 v[29:30], v35 offset:13440
.LBB0_15:
	s_or_b64 exec, exec, s[2:3]
	s_movk_i32 s2, 0xcd
	v_mul_lo_u16_sdwa v31, v28, s2 dst_sel:DWORD dst_unused:UNUSED_PAD src0_sel:BYTE_0 src1_sel:DWORD
	v_lshrrev_b16_e32 v31, 11, v31
	v_mul_lo_u16_e32 v32, 10, v31
	v_sub_u16_e32 v32, v28, v32
	v_mov_b32_e32 v33, 12
	v_mul_u32_u24_sdwa v33, v32, v33 dst_sel:DWORD dst_unused:UNUSED_PAD src0_sel:BYTE_0 src1_sel:DWORD
	v_lshlrev_b32_e32 v33, 3, v33
	global_load_dwordx4 v[47:50], v33, s[12:13]
	global_load_dwordx4 v[51:54], v33, s[12:13] offset:16
	global_load_dwordx4 v[55:58], v33, s[12:13] offset:32
	;; [unrolled: 1-line block ×5, first 2 shown]
	s_mov_b32 s6, 0x3f62ad3f
	s_mov_b32 s3, 0x3f116cb1
	;; [unrolled: 1-line block ×6, first 2 shown]
	s_waitcnt vmcnt(0) lgkmcnt(0)
	s_barrier
	v_mul_f32_e32 v33, v2, v48
	v_mul_f32_e32 v45, v3, v48
	;; [unrolled: 1-line block ×24, first 2 shown]
	v_fmac_f32_e32 v33, v3, v47
	v_fmac_f32_e32 v46, v30, v69
	v_fma_f32 v45, v2, v47, -v45
	v_fmac_f32_e32 v34, v5, v49
	v_fmac_f32_e32 v40, v11, v59
	;; [unrolled: 1-line block ×3, first 2 shown]
	v_fma_f32 v17, v18, v63, -v62
	v_fma_f32 v18, v20, v65, -v64
	v_fmac_f32_e32 v44, v23, v67
	v_fma_f32 v20, v29, v69, -v68
	v_sub_f32_e32 v11, v33, v46
	v_fma_f32 v47, v4, v49, -v48
	v_fma_f32 v48, v6, v51, -v50
	;; [unrolled: 1-line block ×3, first 2 shown]
	v_fmac_f32_e32 v42, v19, v63
	v_fmac_f32_e32 v43, v21, v65
	v_fma_f32 v19, v22, v67, -v66
	v_sub_f32_e32 v10, v45, v20
	v_sub_f32_e32 v119, v34, v44
	v_mul_f32_e32 v21, 0xbeedf032, v11
	v_fmac_f32_e32 v36, v7, v51
	v_fma_f32 v14, v14, v55, -v54
	v_fmac_f32_e32 v38, v15, v55
	v_fma_f32 v15, v8, v57, -v56
	v_add_f32_e32 v55, v45, v20
	v_add_f32_e32 v56, v33, v46
	v_sub_f32_e32 v120, v47, v19
	v_mul_f32_e32 v29, 0xbeedf032, v10
	v_mul_f32_e32 v22, 0xbf52af12, v119
	v_mov_b32_e32 v2, v21
	v_fmac_f32_e32 v37, v13, v53
	v_add_f32_e32 v58, v47, v19
	v_add_f32_e32 v59, v34, v44
	v_sub_f32_e32 v121, v48, v18
	v_sub_f32_e32 v123, v36, v43
	v_mul_f32_e32 v30, 0xbf52af12, v120
	v_fma_f32 v3, v56, s6, -v29
	v_mov_b32_e32 v4, v22
	v_fmac_f32_e32 v2, 0x3f62ad3f, v55
	v_add_f32_e32 v63, v36, v43
	v_mul_f32_e32 v23, 0xbf7e222b, v123
	v_mul_f32_e32 v51, 0xbf7e222b, v121
	v_fma_f32 v5, v59, s3, -v30
	v_add_f32_e32 v3, v1, v3
	v_fmac_f32_e32 v4, 0x3f116cb1, v58
	v_add_f32_e32 v2, v0, v2
	v_sub_f32_e32 v127, v37, v42
	v_fma_f32 v49, v12, v53, -v52
	v_add_f32_e32 v62, v48, v18
	v_mov_b32_e32 v6, v23
	v_add_f32_e32 v3, v5, v3
	v_add_f32_e32 v2, v4, v2
	v_fma_f32 v4, v63, s2, -v51
	v_mul_f32_e32 v52, 0xbf6f5d39, v127
	v_fmac_f32_e32 v6, 0x3df6dbef, v62
	v_add_f32_e32 v3, v4, v3
	v_add_f32_e32 v71, v49, v17
	v_sub_f32_e32 v125, v49, v17
	v_mov_b32_e32 v4, v52
	v_add_f32_e32 v2, v6, v2
	v_add_f32_e32 v72, v37, v42
	v_mul_f32_e32 v53, 0xbf6f5d39, v125
	v_fmac_f32_e32 v4, 0xbeb58ec6, v71
	v_sub_f32_e32 v128, v38, v41
	v_fma_f32 v16, v16, v61, -v60
	v_add_f32_e32 v2, v4, v2
	v_fma_f32 v4, v72, s7, -v53
	v_mul_f32_e32 v54, 0xbf29c268, v128
	v_fmac_f32_e32 v39, v9, v57
	v_add_f32_e32 v3, v4, v3
	v_add_f32_e32 v78, v14, v16
	v_mov_b32_e32 v4, v54
	v_sub_f32_e32 v129, v14, v16
	v_fmac_f32_e32 v4, 0xbf3f9e67, v78
	v_add_f32_e32 v79, v38, v41
	v_mul_f32_e32 v57, 0xbf29c268, v129
	v_sub_f32_e32 v130, v39, v40
	v_add_f32_e32 v2, v4, v2
	v_fma_f32 v4, v79, s8, -v57
	v_mul_f32_e32 v60, 0xbe750f2a, v130
	v_add_f32_e32 v3, v4, v3
	v_add_f32_e32 v89, v15, v50
	v_mov_b32_e32 v4, v60
	v_sub_f32_e32 v131, v15, v50
	v_fmac_f32_e32 v4, 0xbf788fa5, v89
	v_add_f32_e32 v92, v39, v40
	v_mul_f32_e32 v61, 0xbe750f2a, v131
	v_add_f32_e32 v2, v4, v2
	v_fma_f32 v4, v92, s9, -v61
	v_mul_f32_e32 v64, 0xbf52af12, v11
	v_add_f32_e32 v3, v4, v3
	v_mov_b32_e32 v4, v64
	v_mul_f32_e32 v65, 0xbf6f5d39, v119
	v_fmac_f32_e32 v4, 0x3f116cb1, v55
	v_mov_b32_e32 v5, v65
	v_add_f32_e32 v4, v0, v4
	v_fmac_f32_e32 v5, 0xbeb58ec6, v58
	v_mul_f32_e32 v68, 0xbf52af12, v10
	v_add_f32_e32 v4, v5, v4
	v_fma_f32 v5, v56, s3, -v68
	v_mul_f32_e32 v70, 0xbf6f5d39, v120
	v_add_f32_e32 v5, v1, v5
	v_fma_f32 v6, v59, s7, -v70
	v_mul_f32_e32 v66, 0xbe750f2a, v123
	v_add_f32_e32 v5, v6, v5
	v_mov_b32_e32 v6, v66
	v_fmac_f32_e32 v6, 0xbf788fa5, v62
	v_mul_f32_e32 v74, 0xbe750f2a, v121
	v_add_f32_e32 v4, v6, v4
	v_fma_f32 v6, v63, s9, -v74
	v_mul_f32_e32 v67, 0x3f29c268, v127
	v_add_f32_e32 v5, v6, v5
	v_mov_b32_e32 v6, v67
	v_fmac_f32_e32 v6, 0xbf3f9e67, v71
	v_mul_f32_e32 v75, 0x3f29c268, v125
	v_add_f32_e32 v4, v6, v4
	v_fma_f32 v6, v72, s8, -v75
	v_mul_f32_e32 v69, 0x3f7e222b, v128
	v_add_f32_e32 v5, v6, v5
	v_mov_b32_e32 v6, v69
	v_fmac_f32_e32 v6, 0x3df6dbef, v78
	v_mul_f32_e32 v76, 0x3f7e222b, v129
	v_add_f32_e32 v4, v6, v4
	v_fma_f32 v6, v79, s2, -v76
	v_mul_f32_e32 v73, 0x3eedf032, v130
	v_add_f32_e32 v5, v6, v5
	v_mov_b32_e32 v6, v73
	v_fmac_f32_e32 v6, 0x3f62ad3f, v89
	v_mul_f32_e32 v77, 0x3eedf032, v131
	v_add_f32_e32 v4, v6, v4
	v_fma_f32 v6, v92, s6, -v77
	v_mul_f32_e32 v80, 0xbf7e222b, v11
	v_add_f32_e32 v5, v6, v5
	v_mov_b32_e32 v6, v80
	v_mul_f32_e32 v81, 0xbe750f2a, v119
	v_fmac_f32_e32 v6, 0x3df6dbef, v55
	v_mov_b32_e32 v7, v81
	v_add_f32_e32 v6, v0, v6
	v_fmac_f32_e32 v7, 0xbf788fa5, v58
	v_mul_f32_e32 v84, 0xbf7e222b, v10
	v_add_f32_e32 v6, v7, v6
	v_fma_f32 v7, v56, s2, -v84
	v_mul_f32_e32 v86, 0xbe750f2a, v120
	v_add_f32_e32 v7, v1, v7
	v_fma_f32 v8, v59, s9, -v86
	v_mul_f32_e32 v82, 0x3f6f5d39, v123
	v_add_f32_e32 v7, v8, v7
	v_mov_b32_e32 v8, v82
	v_fmac_f32_e32 v8, 0xbeb58ec6, v62
	v_mul_f32_e32 v88, 0x3f6f5d39, v121
	v_add_f32_e32 v6, v8, v6
	v_fma_f32 v8, v63, s7, -v88
	v_mul_f32_e32 v83, 0x3eedf032, v127
	v_add_f32_e32 v7, v8, v7
	v_mov_b32_e32 v8, v83
	v_fmac_f32_e32 v8, 0x3f62ad3f, v71
	v_mul_f32_e32 v90, 0x3eedf032, v125
	v_add_f32_e32 v6, v8, v6
	v_fma_f32 v8, v72, s6, -v90
	v_mul_f32_e32 v85, 0xbf52af12, v128
	v_add_f32_e32 v7, v8, v7
	v_mov_b32_e32 v8, v85
	v_fmac_f32_e32 v8, 0x3f116cb1, v78
	v_mul_f32_e32 v91, 0xbf52af12, v129
	v_add_f32_e32 v6, v8, v6
	v_fma_f32 v8, v79, s3, -v91
	v_mul_f32_e32 v87, 0xbf29c268, v130
	v_add_f32_e32 v7, v8, v7
	v_mov_b32_e32 v8, v87
	v_fmac_f32_e32 v8, 0xbf3f9e67, v89
	;; [unrolled: 42-line block ×3, first 2 shown]
	v_mul_f32_e32 v105, 0x3f52af12, v131
	v_add_f32_e32 v8, v12, v8
	v_fma_f32 v12, v92, s3, -v105
	v_mul_f32_e32 v106, 0xbf29c268, v11
	v_add_f32_e32 v9, v12, v9
	v_mov_b32_e32 v12, v106
	v_mul_f32_e32 v107, 0x3f7e222b, v119
	v_fmac_f32_e32 v12, 0xbf3f9e67, v55
	v_mov_b32_e32 v13, v107
	v_add_f32_e32 v12, v0, v12
	v_fmac_f32_e32 v13, 0x3df6dbef, v58
	v_mul_f32_e32 v110, 0xbf29c268, v10
	v_add_f32_e32 v12, v13, v12
	v_fma_f32 v13, v56, s8, -v110
	v_mul_f32_e32 v112, 0x3f7e222b, v120
	v_add_f32_e32 v13, v1, v13
	v_fma_f32 v108, v59, s2, -v112
	v_add_f32_e32 v13, v108, v13
	v_mul_f32_e32 v108, 0xbf52af12, v123
	v_mov_b32_e32 v109, v108
	v_fmac_f32_e32 v109, 0x3f116cb1, v62
	v_mul_f32_e32 v114, 0xbf52af12, v121
	v_add_f32_e32 v12, v109, v12
	v_fma_f32 v109, v63, s3, -v114
	v_add_f32_e32 v13, v109, v13
	v_mul_f32_e32 v109, 0x3e750f2a, v127
	v_mov_b32_e32 v111, v109
	v_fmac_f32_e32 v111, 0xbf788fa5, v71
	;; [unrolled: 7-line block ×4, first 2 shown]
	v_add_f32_e32 v12, v117, v12
	v_mul_f32_e32 v117, 0xbf6f5d39, v131
	v_fma_f32 v118, v92, s7, -v117
	v_add_f32_e32 v13, v118, v13
	v_mul_f32_e32 v118, 0xbe750f2a, v11
	v_mov_b32_e32 v11, v118
	v_mul_f32_e32 v119, 0x3eedf032, v119
	v_fmac_f32_e32 v11, 0xbf788fa5, v55
	v_mov_b32_e32 v122, v119
	v_add_f32_e32 v11, v0, v11
	v_fmac_f32_e32 v122, 0x3f62ad3f, v58
	v_add_f32_e32 v11, v122, v11
	v_mul_f32_e32 v122, 0xbe750f2a, v10
	v_fma_f32 v10, v56, s9, -v122
	v_mul_f32_e32 v124, 0x3eedf032, v120
	v_add_f32_e32 v10, v1, v10
	v_fma_f32 v120, v59, s6, -v124
	v_add_f32_e32 v10, v120, v10
	v_mul_f32_e32 v120, 0xbf29c268, v123
	v_mul_f32_e32 v126, 0xbf29c268, v121
	v_mov_b32_e32 v123, v120
	v_fma_f32 v121, v63, s8, -v126
	v_fmac_f32_e32 v123, 0xbf3f9e67, v62
	v_add_f32_e32 v10, v121, v10
	v_mul_f32_e32 v121, 0x3f52af12, v127
	v_add_f32_e32 v11, v123, v11
	v_mov_b32_e32 v123, v121
	v_fmac_f32_e32 v123, 0x3f116cb1, v71
	v_mul_f32_e32 v127, 0x3f52af12, v125
	v_add_f32_e32 v11, v123, v11
	v_fma_f32 v123, v72, s3, -v127
	v_add_f32_e32 v10, v123, v10
	v_mul_f32_e32 v123, 0xbf6f5d39, v128
	v_mov_b32_e32 v125, v123
	v_fmac_f32_e32 v125, 0xbeb58ec6, v78
	v_mul_f32_e32 v128, 0xbf6f5d39, v129
	v_add_f32_e32 v11, v125, v11
	v_fma_f32 v125, v79, s7, -v128
	v_add_f32_e32 v132, v125, v10
	v_mul_f32_e32 v125, 0x3f7e222b, v130
	v_mov_b32_e32 v10, v125
	v_mul_f32_e32 v129, 0x3f7e222b, v131
	v_fmac_f32_e32 v10, 0x3df6dbef, v89
	v_add_f32_e32 v10, v10, v11
	v_fma_f32 v11, v92, s2, -v129
	v_add_f32_e32 v11, v11, v132
	s_and_saveexec_b64 s[2:3], vcc
	s_cbranch_execz .LBB0_17
; %bb.16:
	v_mul_f32_e32 v130, 0x3f62ad3f, v55
	v_mul_f32_e32 v132, 0x3f116cb1, v55
	;; [unrolled: 1-line block ×18, first 2 shown]
	v_sub_f32_e32 v55, v55, v118
	v_mul_f32_e32 v141, 0x3f116cb1, v59
	v_mul_f32_e32 v143, 0xbeb58ec6, v59
	;; [unrolled: 1-line block ×12, first 2 shown]
	v_add_f32_e32 v56, v122, v56
	v_add_f32_e32 v55, v0, v55
	v_sub_f32_e32 v58, v58, v119
	v_mul_f32_e32 v151, 0x3df6dbef, v63
	v_mul_f32_e32 v153, 0xbf788fa5, v63
	v_mul_f32_e32 v155, 0xbeb58ec6, v63
	v_mul_f32_e32 v157, 0x3f62ad3f, v63
	v_mul_f32_e32 v159, 0x3f116cb1, v63
	v_mul_f32_e32 v63, 0xbf3f9e67, v63
	v_mul_f32_e32 v160, 0xbeb58ec6, v71
	v_mul_f32_e32 v162, 0xbf3f9e67, v71
	v_mul_f32_e32 v164, 0x3f62ad3f, v71
	v_mul_f32_e32 v166, 0x3df6dbef, v71
	v_mul_f32_e32 v168, 0xbf788fa5, v71
	v_mul_f32_e32 v71, 0x3f116cb1, v71
	v_add_f32_e32 v56, v1, v56
	v_add_f32_e32 v59, v124, v59
	v_add_f32_e32 v55, v58, v55
	v_sub_f32_e32 v58, v62, v120
	v_mul_f32_e32 v161, 0xbeb58ec6, v72
	v_mul_f32_e32 v163, 0xbf3f9e67, v72
	v_mul_f32_e32 v165, 0x3f62ad3f, v72
	v_mul_f32_e32 v167, 0x3df6dbef, v72
	v_mul_f32_e32 v169, 0xbf788fa5, v72
	v_mul_f32_e32 v72, 0x3f116cb1, v72
	v_mul_f32_e32 v170, 0xbf3f9e67, v78
	v_mul_f32_e32 v172, 0x3df6dbef, v78
	v_mul_f32_e32 v174, 0x3f116cb1, v78
	v_mul_f32_e32 v176, 0xbf788fa5, v78
	v_mul_f32_e32 v178, 0x3f62ad3f, v78
	v_mul_f32_e32 v78, 0xbeb58ec6, v78
	v_add_f32_e32 v56, v59, v56
	;; [unrolled: 16-line block ×3, first 2 shown]
	v_add_f32_e32 v59, v127, v72
	v_add_f32_e32 v55, v58, v55
	v_sub_f32_e32 v58, v78, v123
	v_mul_f32_e32 v181, 0xbf788fa5, v92
	v_mul_f32_e32 v183, 0x3f62ad3f, v92
	;; [unrolled: 1-line block ×6, first 2 shown]
	v_add_f32_e32 v56, v59, v56
	v_add_f32_e32 v59, v128, v79
	;; [unrolled: 1-line block ×3, first 2 shown]
	v_sub_f32_e32 v58, v89, v125
	v_add_f32_e32 v56, v59, v56
	v_add_f32_e32 v59, v129, v92
	;; [unrolled: 1-line block ×16, first 2 shown]
	v_sub_f32_e32 v58, v138, v106
	v_add_f32_e32 v58, v0, v58
	v_sub_f32_e32 v62, v148, v107
	v_add_f32_e32 v58, v62, v58
	v_sub_f32_e32 v62, v158, v108
	v_add_f32_e32 v58, v62, v58
	v_sub_f32_e32 v62, v168, v109
	v_add_f32_e32 v58, v62, v58
	v_sub_f32_e32 v62, v178, v111
	v_add_f32_e32 v58, v62, v58
	v_sub_f32_e32 v62, v188, v113
	v_add_f32_e32 v58, v62, v58
	v_add_f32_e32 v62, v98, v137
	v_add_f32_e32 v62, v1, v62
	;; [unrolled: 1-line block ×12, first 2 shown]
	v_sub_f32_e32 v62, v136, v94
	v_add_f32_e32 v62, v0, v62
	v_sub_f32_e32 v71, v146, v95
	v_add_f32_e32 v62, v71, v62
	v_sub_f32_e32 v71, v156, v96
	v_add_f32_e32 v62, v71, v62
	v_sub_f32_e32 v71, v166, v97
	v_add_f32_e32 v62, v71, v62
	v_sub_f32_e32 v71, v176, v99
	v_add_f32_e32 v62, v71, v62
	v_sub_f32_e32 v71, v186, v101
	v_add_f32_e32 v62, v71, v62
	v_add_f32_e32 v71, v84, v135
	v_add_f32_e32 v71, v1, v71
	v_add_f32_e32 v72, v86, v145
	v_add_f32_e32 v71, v72, v71
	v_add_f32_e32 v72, v88, v155
	v_add_f32_e32 v71, v72, v71
	v_add_f32_e32 v72, v90, v165
	v_add_f32_e32 v71, v72, v71
	v_add_f32_e32 v72, v91, v175
	v_add_f32_e32 v71, v72, v71
	v_add_f32_e32 v72, v93, v185
	v_add_f32_e32 v72, v72, v71
	v_sub_f32_e32 v71, v134, v80
	v_add_f32_e32 v68, v68, v133
	v_sub_f32_e32 v64, v132, v64
	v_add_f32_e32 v29, v29, v131
	;; [unrolled: 2-line block ×3, first 2 shown]
	v_add_f32_e32 v68, v1, v68
	v_add_f32_e32 v64, v0, v64
	;; [unrolled: 1-line block ×17, first 2 shown]
	v_sub_f32_e32 v22, v140, v22
	v_add_f32_e32 v1, v1, v40
	v_add_f32_e32 v0, v0, v50
	v_sub_f32_e32 v78, v144, v81
	v_add_f32_e32 v70, v70, v143
	v_sub_f32_e32 v65, v142, v65
	v_add_f32_e32 v29, v30, v29
	v_add_f32_e32 v30, v51, v151
	v_add_f32_e32 v21, v22, v21
	v_sub_f32_e32 v22, v150, v23
	v_add_f32_e32 v1, v1, v41
	v_add_f32_e32 v0, v0, v16
	;; [unrolled: 4-line block ×8, first 2 shown]
	v_mov_b32_e32 v15, 3
	v_add_f32_e32 v71, v78, v71
	v_sub_f32_e32 v78, v174, v85
	v_add_f32_e32 v68, v70, v68
	v_add_f32_e32 v70, v76, v173
	v_add_f32_e32 v64, v65, v64
	v_sub_f32_e32 v65, v172, v69
	v_add_f32_e32 v29, v30, v29
	v_add_f32_e32 v30, v61, v181
	;; [unrolled: 4-line block ×3, first 2 shown]
	v_mul_u32_u24_e32 v14, 0x410, v31
	v_lshlrev_b32_sdwa v15, v15, v32 dst_sel:DWORD dst_unused:UNUSED_PAD src0_sel:DWORD src1_sel:BYTE_0
	v_add_f32_e32 v71, v78, v71
	v_sub_f32_e32 v78, v184, v87
	v_add_f32_e32 v68, v70, v68
	v_add_f32_e32 v70, v77, v183
	;; [unrolled: 1-line block ×3, first 2 shown]
	v_sub_f32_e32 v65, v182, v73
	v_add_f32_e32 v30, v30, v29
	v_add_f32_e32 v29, v22, v21
	;; [unrolled: 1-line block ×4, first 2 shown]
	v_add3_u32 v14, 0, v14, v15
	v_add_f32_e32 v71, v78, v71
	v_add_f32_e32 v68, v70, v68
	;; [unrolled: 1-line block ×3, first 2 shown]
	ds_write2_b64 v14, v[0:1], v[29:30] offset1:10
	ds_write2_b64 v14, v[67:68], v[71:72] offset0:20 offset1:30
	ds_write2_b64 v14, v[62:63], v[58:59] offset0:40 offset1:50
	;; [unrolled: 1-line block ×5, first 2 shown]
	ds_write_b64 v14, v[2:3] offset:960
.LBB0_17:
	s_or_b64 exec, exec, s[2:3]
	s_waitcnt lgkmcnt(0)
	s_barrier
	ds_read_b64 v[16:17], v35
	ds_read_b64 v[33:34], v35 offset:2080
	ds_read_b64 v[31:32], v35 offset:4160
	;; [unrolled: 1-line block ×6, first 2 shown]
	s_movk_i32 s2, 0x4e
	v_cmp_gt_u32_e32 vcc, s2, v28
                                        ; implicit-def: $vgpr15
	s_and_saveexec_b64 s[2:3], vcc
	s_cbranch_execz .LBB0_19
; %bb.18:
	v_add_u32_e32 v0, 0x1400, v35
	ds_read2_b32 v[8:9], v0 offset0:124 offset1:125
	ds_read_b64 v[10:11], v35 offset:1456
	ds_read_b64 v[12:13], v35 offset:3536
	;; [unrolled: 1-line block ×6, first 2 shown]
.LBB0_19:
	s_or_b64 exec, exec, s[2:3]
	s_movk_i32 s2, 0x82
	v_add_u32_e32 v0, 0xffffff7e, v28
	v_cmp_gt_u32_e64 s[2:3], s2, v28
	v_cndmask_b32_e64 v50, v0, v28, s[2:3]
	v_mul_i32_i24_e32 v0, 6, v50
	v_mov_b32_e32 v1, 0
	v_lshlrev_b64 v[36:37], 3, v[0:1]
	v_mov_b32_e32 v0, s13
	v_add_co_u32_e64 v48, s[2:3], s12, v36
	v_addc_co_u32_e64 v49, s[2:3], v0, v37, s[2:3]
	global_load_dwordx4 v[36:39], v[48:49], off offset:960
	global_load_dwordx4 v[40:43], v[48:49], off offset:976
	;; [unrolled: 1-line block ×3, first 2 shown]
	s_mov_b32 s7, 0x3f3bfb3b
	s_mov_b32 s8, 0xbf3bfb3b
	;; [unrolled: 1-line block ×4, first 2 shown]
	s_movk_i32 s2, 0x81
	v_cmp_lt_u32_e64 s[2:3], s2, v28
	s_waitcnt vmcnt(0) lgkmcnt(0)
	s_barrier
	s_movk_i32 s9, 0x1000
	v_mul_f32_e32 v0, v37, v34
	v_mul_f32_e32 v37, v37, v33
	;; [unrolled: 1-line block ×12, first 2 shown]
	v_fma_f32 v0, v36, v33, -v0
	v_fmac_f32_e32 v37, v36, v34
	v_fma_f32 v31, v38, v31, -v48
	v_fmac_f32_e32 v39, v38, v32
	;; [unrolled: 2-line block ×6, first 2 shown]
	v_add_f32_e32 v19, v0, v18
	v_add_f32_e32 v21, v37, v47
	;; [unrolled: 1-line block ×8, first 2 shown]
	v_sub_f32_e32 v0, v0, v18
	v_sub_f32_e32 v18, v37, v47
	;; [unrolled: 1-line block ×12, first 2 shown]
	v_add_f32_e32 v32, v32, v34
	v_add_f32_e32 v33, v33, v36
	;; [unrolled: 1-line block ×4, first 2 shown]
	v_sub_f32_e32 v41, v22, v20
	v_sub_f32_e32 v42, v29, v31
	;; [unrolled: 1-line block ×4, first 2 shown]
	v_mul_f32_e32 v19, 0x3f4a47b2, v19
	v_mul_f32_e32 v21, 0x3f4a47b2, v21
	;; [unrolled: 1-line block ×4, first 2 shown]
	v_add_f32_e32 v16, v32, v16
	v_add_f32_e32 v17, v33, v17
	v_sub_f32_e32 v22, v0, v22
	v_sub_f32_e32 v29, v18, v29
	v_add_f32_e32 v0, v39, v0
	v_add_f32_e32 v18, v40, v18
	v_mul_f32_e32 v39, 0xbf08b237, v41
	v_mul_f32_e32 v40, 0xbf08b237, v42
	;; [unrolled: 1-line block ×4, first 2 shown]
	v_fma_f32 v34, v37, s7, -v34
	v_fma_f32 v36, v38, s7, -v36
	;; [unrolled: 1-line block ×3, first 2 shown]
	v_fmac_f32_e32 v19, 0x3d64c772, v23
	v_fma_f32 v23, v38, s8, -v21
	v_fmac_f32_e32 v21, 0x3d64c772, v30
	v_mov_b32_e32 v30, v16
	v_mov_b32_e32 v38, v17
	v_fmac_f32_e32 v30, 0xbf955555, v32
	v_fmac_f32_e32 v38, 0xbf955555, v33
	v_fma_f32 v32, v20, s6, -v39
	v_fmac_f32_e32 v39, 0x3eae86e6, v22
	v_fma_f32 v31, v31, s6, -v40
	v_fma_f32 v33, v22, s14, -v41
	;; [unrolled: 1-line block ×3, first 2 shown]
	v_fmac_f32_e32 v40, 0x3eae86e6, v29
	v_add_f32_e32 v29, v34, v30
	v_add_f32_e32 v34, v36, v38
	;; [unrolled: 1-line block ×3, first 2 shown]
	v_fmac_f32_e32 v39, 0x3ee1c552, v0
	v_fmac_f32_e32 v32, 0x3ee1c552, v0
	;; [unrolled: 1-line block ×5, first 2 shown]
	v_mov_b32_e32 v0, 0x1c70
	v_add_f32_e32 v42, v19, v30
	v_add_f32_e32 v43, v21, v38
	v_fmac_f32_e32 v40, 0x3ee1c552, v18
	v_add_f32_e32 v20, v41, v36
	v_sub_f32_e32 v22, v29, v31
	v_add_f32_e32 v29, v31, v29
	v_sub_f32_e32 v31, v36, v41
	v_cndmask_b32_e64 v0, 0, v0, s[2:3]
	v_lshlrev_b32_e32 v36, 3, v50
	v_add_f32_e32 v37, v23, v38
	v_add_f32_e32 v18, v40, v42
	v_sub_f32_e32 v19, v43, v39
	v_add3_u32 v0, 0, v0, v36
	v_sub_f32_e32 v21, v37, v33
	v_add_f32_e32 v23, v32, v34
	ds_write2_b64 v0, v[16:17], v[18:19] offset1:130
	v_add_u32_e32 v16, 0x800, v0
	v_sub_f32_e32 v30, v34, v32
	v_add_f32_e32 v32, v33, v37
	ds_write2_b64 v16, v[20:21], v[22:23] offset0:4 offset1:134
	v_add_u32_e32 v16, 0x1000, v0
	v_sub_f32_e32 v33, v42, v40
	v_add_f32_e32 v34, v39, v43
	ds_write2_b64 v16, v[29:30], v[31:32] offset0:8 offset1:138
	ds_write_b64 v0, v[33:34] offset:6240
	s_and_saveexec_b64 s[2:3], vcc
	s_cbranch_execz .LBB0_21
; %bb.20:
	v_add_u32_e32 v0, 0xb6, v28
	s_movk_i32 s15, 0xfc1
	v_mul_u32_u24_sdwa v16, v0, s15 dst_sel:DWORD dst_unused:UNUSED_PAD src0_sel:WORD_0 src1_sel:DWORD
	v_lshrrev_b32_e32 v16, 19, v16
	v_mul_lo_u16_e32 v16, 0x82, v16
	v_sub_u16_e32 v0, v0, v16
	v_mul_u32_u24_e32 v16, 6, v0
	v_lshlrev_b32_e32 v33, 3, v16
	global_load_dwordx4 v[16:19], v33, s[12:13] offset:960
	global_load_dwordx4 v[20:23], v33, s[12:13] offset:992
	;; [unrolled: 1-line block ×3, first 2 shown]
	v_lshl_add_u32 v0, v0, 3, 0
	s_waitcnt vmcnt(2)
	v_mul_f32_e32 v33, v13, v17
	s_waitcnt vmcnt(1)
	v_mul_f32_e32 v34, v15, v23
	;; [unrolled: 2-line block ×3, first 2 shown]
	v_mul_f32_e32 v37, v7, v30
	v_mul_f32_e32 v38, v9, v19
	;; [unrolled: 1-line block ×9, first 2 shown]
	v_fma_f32 v12, v12, v16, -v33
	v_fma_f32 v14, v14, v22, -v34
	;; [unrolled: 1-line block ×6, first 2 shown]
	v_fmac_f32_e32 v23, v15, v22
	v_fmac_f32_e32 v17, v13, v16
	;; [unrolled: 1-line block ×6, first 2 shown]
	v_sub_f32_e32 v3, v12, v14
	v_sub_f32_e32 v5, v4, v6
	;; [unrolled: 1-line block ×3, first 2 shown]
	v_add_f32_e32 v12, v12, v14
	v_add_f32_e32 v4, v6, v4
	;; [unrolled: 1-line block ×6, first 2 shown]
	v_sub_f32_e32 v8, v17, v23
	v_sub_f32_e32 v2, v32, v30
	;; [unrolled: 1-line block ×4, first 2 shown]
	v_add_f32_e32 v23, v6, v12
	v_sub_f32_e32 v18, v9, v13
	v_sub_f32_e32 v19, v13, v15
	v_add_f32_e32 v20, v15, v9
	v_sub_f32_e32 v21, v12, v4
	v_sub_f32_e32 v22, v4, v6
	;; [unrolled: 1-line block ×4, first 2 shown]
	v_add_f32_e32 v2, v2, v14
	v_sub_f32_e32 v31, v7, v3
	v_sub_f32_e32 v9, v15, v9
	v_mul_f32_e32 v15, 0xbf08b237, v17
	v_add_f32_e32 v4, v4, v23
	v_sub_f32_e32 v16, v3, v5
	v_add_f32_e32 v5, v5, v7
	v_add_f32_e32 v7, v13, v20
	v_mul_f32_e32 v13, 0x3f4a47b2, v21
	v_mul_f32_e32 v21, 0xbf08b237, v30
	v_add_f32_e32 v23, v2, v8
	v_mul_f32_e32 v30, 0x3f5ff5aa, v31
	v_mov_b32_e32 v32, v15
	v_add_f32_e32 v2, v10, v4
	v_add_f32_e32 v17, v5, v3
	;; [unrolled: 1-line block ×3, first 2 shown]
	v_mov_b32_e32 v11, v13
	v_fma_f32 v30, v16, s14, -v30
	v_fmac_f32_e32 v32, 0x3eae86e6, v16
	v_mov_b32_e32 v16, v2
	v_fmac_f32_e32 v11, 0x3d64c772, v22
	v_fmac_f32_e32 v16, 0xbf955555, v4
	v_mul_f32_e32 v20, 0x3d64c772, v22
	v_add_f32_e32 v22, v11, v16
	v_sub_f32_e32 v11, v6, v12
	v_mul_f32_e32 v5, 0x3f4a47b2, v18
	v_fma_f32 v6, v11, s8, -v13
	v_sub_f32_e32 v8, v14, v8
	v_mul_f32_e32 v18, 0x3d64c772, v19
	v_mov_b32_e32 v33, v5
	v_mov_b32_e32 v34, v21
	;; [unrolled: 1-line block ×3, first 2 shown]
	v_add_f32_e32 v12, v6, v16
	v_mul_f32_e32 v6, 0x3f5ff5aa, v8
	v_fma_f32 v5, v9, s8, -v5
	v_fmac_f32_e32 v33, 0x3d64c772, v19
	v_fmac_f32_e32 v34, 0x3eae86e6, v29
	;; [unrolled: 1-line block ×3, first 2 shown]
	v_fma_f32 v14, v29, s14, -v6
	v_fma_f32 v9, v9, s7, -v18
	v_fma_f32 v13, v31, s6, -v15
	v_fma_f32 v15, v8, s6, -v21
	v_fma_f32 v8, v11, s7, -v20
	v_fmac_f32_e32 v32, 0x3ee1c552, v17
	v_fmac_f32_e32 v34, 0x3ee1c552, v23
	v_add_f32_e32 v19, v33, v10
	v_add_f32_e32 v33, v5, v10
	v_fmac_f32_e32 v14, 0x3ee1c552, v23
	v_add_f32_e32 v10, v9, v10
	v_fmac_f32_e32 v13, 0x3ee1c552, v17
	v_fmac_f32_e32 v15, 0x3ee1c552, v23
	v_add_f32_e32 v16, v8, v16
	v_fmac_f32_e32 v30, 0x3ee1c552, v17
	v_sub_f32_e32 v6, v12, v14
	v_sub_f32_e32 v9, v10, v13
	v_add_f32_e32 v8, v15, v16
	v_add_f32_e32 v11, v13, v10
	v_sub_f32_e32 v10, v16, v15
	v_add_f32_e32 v12, v14, v12
	v_sub_f32_e32 v15, v19, v32
	v_add_f32_e32 v14, v34, v22
	v_add_u32_e32 v16, 0x1c00, v0
	v_sub_f32_e32 v13, v33, v30
	ds_write2_b64 v16, v[2:3], v[14:15] offset0:14 offset1:144
	v_add_u32_e32 v2, 0x2400, v0
	v_add_f32_e32 v7, v30, v33
	ds_write2_b64 v2, v[12:13], v[10:11] offset0:18 offset1:148
	v_add_u32_e32 v2, 0x2c00, v0
	v_add_f32_e32 v5, v32, v19
	v_sub_f32_e32 v4, v22, v34
	ds_write2_b64 v2, v[8:9], v[6:7] offset0:22 offset1:152
	ds_write_b64 v0, v[4:5] offset:13520
.LBB0_21:
	s_or_b64 exec, exec, s[2:3]
	v_mov_b32_e32 v29, v1
	v_lshlrev_b64 v[0:1], 3, v[28:29]
	v_mov_b32_e32 v2, s13
	v_add_co_u32_e32 v6, vcc, s12, v0
	v_addc_co_u32_e32 v7, vcc, v2, v1, vcc
	v_add_co_u32_e32 v2, vcc, s9, v6
	s_movk_i32 s2, 0x2000
	v_addc_co_u32_e32 v3, vcc, 0, v7, vcc
	v_add_co_u32_e32 v4, vcc, s2, v6
	v_addc_co_u32_e32 v5, vcc, 0, v7, vcc
	s_movk_i32 s2, 0x3000
	s_waitcnt lgkmcnt(0)
	s_barrier
	global_load_dwordx2 v[22:23], v[2:3], off offset:3104
	global_load_dwordx2 v[29:30], v[4:5], off offset:464
	;; [unrolled: 1-line block ×4, first 2 shown]
	v_add_co_u32_e32 v2, vcc, s2, v6
	v_addc_co_u32_e32 v3, vcc, 0, v7, vcc
	global_load_dwordx2 v[36:37], v[2:3], off offset:736
	v_add_u32_e32 v38, 0x1600, v35
	ds_read2_b64 v[2:5], v35 offset1:182
	v_add_u32_e32 v39, 0x2000, v35
	v_add_u32_e32 v40, 0xa00, v35
	;; [unrolled: 1-line block ×3, first 2 shown]
	ds_read2_b64 v[6:9], v38 offset0:24 offset1:206
	ds_read2_b64 v[10:13], v39 offset0:68 offset1:250
	;; [unrolled: 1-line block ×4, first 2 shown]
	s_waitcnt vmcnt(0) lgkmcnt(0)
	s_barrier
	s_add_u32 s6, s12, 0x3890
	s_addc_u32 s7, s13, 0
	v_cmp_ne_u32_e32 vcc, 0, v28
	v_mul_f32_e32 v42, v23, v9
	v_mul_f32_e32 v43, v30, v11
	;; [unrolled: 1-line block ×10, first 2 shown]
	v_fma_f32 v10, v29, v10, -v43
	v_fmac_f32_e32 v30, v29, v11
	v_fma_f32 v8, v22, v8, -v42
	v_fmac_f32_e32 v23, v22, v9
	;; [unrolled: 2-line block ×5, first 2 shown]
	v_sub_f32_e32 v10, v4, v10
	v_sub_f32_e32 v11, v5, v30
	;; [unrolled: 1-line block ×10, first 2 shown]
	v_fma_f32 v4, v4, 2.0, -v10
	v_fma_f32 v5, v5, 2.0, -v11
	;; [unrolled: 1-line block ×10, first 2 shown]
	ds_write2_b64 v39, v[10:11], v[12:13] offset0:68 offset1:250
	ds_write2_b64 v41, v[18:19], v[20:21] offset0:48 offset1:230
	ds_write2_b64 v35, v[2:3], v[4:5] offset1:182
	ds_write2_b64 v40, v[14:15], v[16:17] offset0:44 offset1:226
	ds_write2_b64 v38, v[6:7], v[8:9] offset0:24 offset1:206
	s_waitcnt lgkmcnt(0)
	s_barrier
	ds_read_b64 v[4:5], v35
	v_lshlrev_b32_e32 v2, 3, v28
	v_sub_u32_e32 v6, 0, v2
                                        ; implicit-def: $vgpr2
                                        ; implicit-def: $vgpr7
                                        ; implicit-def: $vgpr8
	s_and_saveexec_b64 s[2:3], vcc
	s_xor_b64 s[2:3], exec, s[2:3]
	s_cbranch_execz .LBB0_23
; %bb.22:
	v_mov_b32_e32 v3, s7
	v_add_co_u32_e32 v2, vcc, s6, v0
	v_addc_co_u32_e32 v3, vcc, v3, v1, vcc
	global_load_dwordx2 v[9:10], v[2:3], off
	ds_read_b64 v[2:3], v6 offset:14560
	s_waitcnt lgkmcnt(0)
	v_add_f32_e32 v11, v2, v4
	v_sub_f32_e32 v2, v4, v2
	v_add_f32_e32 v7, v3, v5
	v_sub_f32_e32 v3, v5, v3
	v_mul_f32_e32 v5, 0.5, v2
	v_mul_f32_e32 v4, 0.5, v7
	;; [unrolled: 1-line block ×3, first 2 shown]
	s_waitcnt vmcnt(0)
	v_mul_f32_e32 v3, v10, v5
	v_fma_f32 v8, v4, v10, v2
	v_fma_f32 v10, v4, v10, -v2
	v_fma_f32 v7, 0.5, v11, v3
	v_fma_f32 v2, v11, 0.5, -v3
	v_fma_f32 v8, -v9, v5, v8
	v_fmac_f32_e32 v7, v9, v4
	v_fma_f32 v2, -v9, v4, v2
	v_fma_f32 v3, -v9, v5, v10
                                        ; implicit-def: $vgpr4_vgpr5
.LBB0_23:
	s_andn2_saveexec_b64 s[2:3], s[2:3]
	s_cbranch_execz .LBB0_25
; %bb.24:
	v_mov_b32_e32 v8, 0
	ds_read_b32 v3, v8 offset:7284
	s_waitcnt lgkmcnt(1)
	v_add_f32_e32 v7, v4, v5
	v_sub_f32_e32 v2, v4, v5
	s_waitcnt lgkmcnt(0)
	v_xor_b32_e32 v3, 0x80000000, v3
	ds_write_b32 v8, v3 offset:7284
	v_mov_b32_e32 v3, 0
.LBB0_25:
	s_or_b64 exec, exec, s[2:3]
	s_waitcnt lgkmcnt(0)
	v_mov_b32_e32 v4, s7
	v_add_co_u32_e32 v0, vcc, s6, v0
	v_addc_co_u32_e32 v1, vcc, v4, v1, vcc
	global_load_dwordx2 v[4:5], v[0:1], off offset:1456
	global_load_dwordx2 v[9:10], v[0:1], off offset:2912
	s_movk_i32 s2, 0x1000
	v_add_co_u32_e32 v0, vcc, s2, v0
	v_addc_co_u32_e32 v1, vcc, 0, v1, vcc
	global_load_dwordx2 v[11:12], v[0:1], off offset:272
	ds_write2_b32 v35, v7, v8 offset1:1
	ds_write_b64 v6, v[2:3] offset:14560
	ds_read_b64 v[2:3], v35 offset:1456
	ds_read_b64 v[7:8], v6 offset:13104
	global_load_dwordx2 v[0:1], v[0:1], off offset:1728
	v_add_u32_e32 v13, 0x400, v35
	s_waitcnt lgkmcnt(0)
	v_add_f32_e32 v14, v2, v7
	v_sub_f32_e32 v2, v2, v7
	v_add_f32_e32 v15, v3, v8
	v_sub_f32_e32 v3, v3, v8
	v_mul_f32_e32 v2, 0.5, v2
	v_mul_f32_e32 v7, 0.5, v15
	;; [unrolled: 1-line block ×3, first 2 shown]
	s_waitcnt vmcnt(3)
	v_mul_f32_e32 v8, v5, v2
	v_fma_f32 v15, v7, v5, v3
	v_fma_f32 v3, v7, v5, -v3
	v_fma_f32 v5, 0.5, v14, v8
	v_fma_f32 v15, -v4, v2, v15
	v_fma_f32 v8, v14, 0.5, -v8
	v_fmac_f32_e32 v5, v4, v7
	v_fma_f32 v3, -v4, v2, v3
	v_fma_f32 v2, -v4, v7, v8
	ds_write2_b32 v13, v5, v15 offset0:108 offset1:109
	ds_write_b64 v6, v[2:3] offset:13104
	ds_read_b64 v[2:3], v35 offset:2912
	ds_read_b64 v[4:5], v6 offset:11648
	v_add_u32_e32 v7, 0x800, v35
	s_waitcnt lgkmcnt(0)
	v_add_f32_e32 v8, v2, v4
	v_sub_f32_e32 v2, v2, v4
	v_add_f32_e32 v13, v3, v5
	v_sub_f32_e32 v3, v3, v5
	v_mul_f32_e32 v2, 0.5, v2
	v_mul_f32_e32 v4, 0.5, v13
	;; [unrolled: 1-line block ×3, first 2 shown]
	s_waitcnt vmcnt(2)
	v_mul_f32_e32 v5, v10, v2
	v_fma_f32 v13, v4, v10, v3
	v_fma_f32 v3, v4, v10, -v3
	v_fma_f32 v10, 0.5, v8, v5
	v_fma_f32 v13, -v9, v2, v13
	v_fma_f32 v5, v8, 0.5, -v5
	v_fmac_f32_e32 v10, v9, v4
	v_fma_f32 v3, -v9, v2, v3
	v_fma_f32 v2, -v9, v4, v5
	ds_write2_b32 v7, v10, v13 offset0:216 offset1:217
	ds_write_b64 v6, v[2:3] offset:11648
	ds_read_b64 v[2:3], v35 offset:4368
	ds_read_b64 v[4:5], v6 offset:10192
	v_add_u32_e32 v7, 0x1000, v35
	s_waitcnt lgkmcnt(0)
	v_add_f32_e32 v8, v2, v4
	v_sub_f32_e32 v2, v2, v4
	v_add_f32_e32 v9, v3, v5
	v_sub_f32_e32 v3, v3, v5
	v_mul_f32_e32 v2, 0.5, v2
	v_mul_f32_e32 v4, 0.5, v9
	;; [unrolled: 1-line block ×3, first 2 shown]
	s_waitcnt vmcnt(1)
	v_mul_f32_e32 v5, v12, v2
	v_fma_f32 v9, v4, v12, v3
	v_fma_f32 v10, 0.5, v8, v5
	v_fma_f32 v3, v4, v12, -v3
	v_fma_f32 v9, -v11, v2, v9
	v_fma_f32 v5, v8, 0.5, -v5
	v_fmac_f32_e32 v10, v11, v4
	v_fma_f32 v3, -v11, v2, v3
	v_fma_f32 v2, -v11, v4, v5
	ds_write2_b32 v7, v10, v9 offset0:68 offset1:69
	ds_write_b64 v6, v[2:3] offset:10192
	ds_read_b64 v[2:3], v35 offset:5824
	ds_read_b64 v[4:5], v6 offset:8736
	v_add_u32_e32 v7, 0x1400, v35
	s_waitcnt lgkmcnt(0)
	v_add_f32_e32 v8, v2, v4
	v_sub_f32_e32 v2, v2, v4
	v_add_f32_e32 v9, v3, v5
	v_sub_f32_e32 v3, v3, v5
	v_mul_f32_e32 v2, 0.5, v2
	v_mul_f32_e32 v4, 0.5, v9
	v_mul_f32_e32 v3, 0.5, v3
	s_waitcnt vmcnt(0)
	v_mul_f32_e32 v5, v1, v2
	v_fma_f32 v9, v4, v1, v3
	v_fma_f32 v1, v4, v1, -v3
	v_fma_f32 v3, 0.5, v8, v5
	v_fma_f32 v9, -v0, v2, v9
	v_fma_f32 v5, v8, 0.5, -v5
	v_fmac_f32_e32 v3, v0, v4
	v_fma_f32 v1, -v0, v2, v1
	v_fma_f32 v0, -v0, v4, v5
	ds_write2_b32 v7, v3, v9 offset0:176 offset1:177
	ds_write_b64 v6, v[0:1] offset:8736
	s_waitcnt lgkmcnt(0)
	s_barrier
	s_and_saveexec_b64 s[2:3], s[0:1]
	s_cbranch_execz .LBB0_28
; %bb.26:
	v_mul_lo_u32 v2, s5, v26
	v_mul_lo_u32 v3, s4, v27
	v_mad_u64_u32 v[0:1], s[0:1], s4, v26, 0
	v_mov_b32_e32 v6, s11
	v_lshl_add_u32 v8, v28, 3, 0
	v_add3_u32 v1, v1, v3, v2
	v_lshlrev_b64 v[0:1], 3, v[0:1]
	v_mov_b32_e32 v29, 0
	v_add_co_u32_e32 v0, vcc, s10, v0
	v_addc_co_u32_e32 v9, vcc, v6, v1, vcc
	v_lshlrev_b64 v[6:7], 3, v[24:25]
	ds_read2_b64 v[2:5], v8 offset1:182
	v_add_co_u32_e32 v1, vcc, v0, v6
	v_addc_co_u32_e32 v0, vcc, v9, v7, vcc
	v_lshlrev_b64 v[6:7], 3, v[28:29]
	s_movk_i32 s0, 0xb5
	v_add_co_u32_e32 v6, vcc, v1, v6
	v_addc_co_u32_e32 v7, vcc, v0, v7, vcc
	s_waitcnt lgkmcnt(0)
	global_store_dwordx2 v[6:7], v[2:3], off
	v_add_u32_e32 v2, 0xb6, v28
	v_mov_b32_e32 v3, v29
	v_lshlrev_b64 v[2:3], 3, v[2:3]
	v_add_u32_e32 v6, 0x16c, v28
	v_add_co_u32_e32 v2, vcc, v1, v2
	v_addc_co_u32_e32 v3, vcc, v0, v3, vcc
	global_store_dwordx2 v[2:3], v[4:5], off
	v_add_u32_e32 v2, 0xa00, v8
	v_mov_b32_e32 v7, v29
	ds_read2_b64 v[2:5], v2 offset0:44 offset1:226
	v_lshlrev_b64 v[6:7], 3, v[6:7]
	v_add_co_u32_e32 v6, vcc, v1, v6
	v_addc_co_u32_e32 v7, vcc, v0, v7, vcc
	s_waitcnt lgkmcnt(0)
	global_store_dwordx2 v[6:7], v[2:3], off
	v_add_u32_e32 v2, 0x222, v28
	v_mov_b32_e32 v3, v29
	v_lshlrev_b64 v[2:3], 3, v[2:3]
	v_add_u32_e32 v6, 0x2d8, v28
	v_add_co_u32_e32 v2, vcc, v1, v2
	v_addc_co_u32_e32 v3, vcc, v0, v3, vcc
	global_store_dwordx2 v[2:3], v[4:5], off
	v_add_u32_e32 v2, 0x1600, v8
	v_mov_b32_e32 v7, v29
	ds_read2_b64 v[2:5], v2 offset0:24 offset1:206
	v_lshlrev_b64 v[6:7], 3, v[6:7]
	;; [unrolled: 15-line block ×4, first 2 shown]
	v_add_co_u32_e32 v6, vcc, v1, v6
	v_addc_co_u32_e32 v7, vcc, v0, v7, vcc
	s_waitcnt lgkmcnt(0)
	global_store_dwordx2 v[6:7], v[2:3], off
	v_add_u32_e32 v2, 0x666, v28
	v_mov_b32_e32 v3, v29
	v_lshlrev_b64 v[2:3], 3, v[2:3]
	v_add_co_u32_e32 v2, vcc, v1, v2
	v_addc_co_u32_e32 v3, vcc, v0, v3, vcc
	v_cmp_eq_u32_e32 vcc, s0, v28
	global_store_dwordx2 v[2:3], v[4:5], off
	s_and_b64 exec, exec, vcc
	s_cbranch_execz .LBB0_28
; %bb.27:
	ds_read_b64 v[2:3], v29 offset:14560
	v_add_co_u32_e32 v4, vcc, 0x3000, v1
	v_addc_co_u32_e32 v5, vcc, 0, v0, vcc
	s_waitcnt lgkmcnt(0)
	global_store_dwordx2 v[4:5], v[2:3], off offset:2272
.LBB0_28:
	s_endpgm
	.section	.rodata,"a",@progbits
	.p2align	6, 0x0
	.amdhsa_kernel fft_rtc_fwd_len1820_factors_10_13_7_2_wgs_182_tpt_182_halfLds_sp_op_CI_CI_unitstride_sbrr_R2C_dirReg
		.amdhsa_group_segment_fixed_size 0
		.amdhsa_private_segment_fixed_size 0
		.amdhsa_kernarg_size 104
		.amdhsa_user_sgpr_count 6
		.amdhsa_user_sgpr_private_segment_buffer 1
		.amdhsa_user_sgpr_dispatch_ptr 0
		.amdhsa_user_sgpr_queue_ptr 0
		.amdhsa_user_sgpr_kernarg_segment_ptr 1
		.amdhsa_user_sgpr_dispatch_id 0
		.amdhsa_user_sgpr_flat_scratch_init 0
		.amdhsa_user_sgpr_private_segment_size 0
		.amdhsa_uses_dynamic_stack 0
		.amdhsa_system_sgpr_private_segment_wavefront_offset 0
		.amdhsa_system_sgpr_workgroup_id_x 1
		.amdhsa_system_sgpr_workgroup_id_y 0
		.amdhsa_system_sgpr_workgroup_id_z 0
		.amdhsa_system_sgpr_workgroup_info 0
		.amdhsa_system_vgpr_workitem_id 0
		.amdhsa_next_free_vgpr 190
		.amdhsa_next_free_sgpr 28
		.amdhsa_reserve_vcc 1
		.amdhsa_reserve_flat_scratch 0
		.amdhsa_float_round_mode_32 0
		.amdhsa_float_round_mode_16_64 0
		.amdhsa_float_denorm_mode_32 3
		.amdhsa_float_denorm_mode_16_64 3
		.amdhsa_dx10_clamp 1
		.amdhsa_ieee_mode 1
		.amdhsa_fp16_overflow 0
		.amdhsa_exception_fp_ieee_invalid_op 0
		.amdhsa_exception_fp_denorm_src 0
		.amdhsa_exception_fp_ieee_div_zero 0
		.amdhsa_exception_fp_ieee_overflow 0
		.amdhsa_exception_fp_ieee_underflow 0
		.amdhsa_exception_fp_ieee_inexact 0
		.amdhsa_exception_int_div_zero 0
	.end_amdhsa_kernel
	.text
.Lfunc_end0:
	.size	fft_rtc_fwd_len1820_factors_10_13_7_2_wgs_182_tpt_182_halfLds_sp_op_CI_CI_unitstride_sbrr_R2C_dirReg, .Lfunc_end0-fft_rtc_fwd_len1820_factors_10_13_7_2_wgs_182_tpt_182_halfLds_sp_op_CI_CI_unitstride_sbrr_R2C_dirReg
                                        ; -- End function
	.section	.AMDGPU.csdata,"",@progbits
; Kernel info:
; codeLenInByte = 9712
; NumSgprs: 32
; NumVgprs: 190
; ScratchSize: 0
; MemoryBound: 0
; FloatMode: 240
; IeeeMode: 1
; LDSByteSize: 0 bytes/workgroup (compile time only)
; SGPRBlocks: 3
; VGPRBlocks: 47
; NumSGPRsForWavesPerEU: 32
; NumVGPRsForWavesPerEU: 190
; Occupancy: 1
; WaveLimiterHint : 1
; COMPUTE_PGM_RSRC2:SCRATCH_EN: 0
; COMPUTE_PGM_RSRC2:USER_SGPR: 6
; COMPUTE_PGM_RSRC2:TRAP_HANDLER: 0
; COMPUTE_PGM_RSRC2:TGID_X_EN: 1
; COMPUTE_PGM_RSRC2:TGID_Y_EN: 0
; COMPUTE_PGM_RSRC2:TGID_Z_EN: 0
; COMPUTE_PGM_RSRC2:TIDIG_COMP_CNT: 0
	.type	__hip_cuid_501b04919784b9e3,@object ; @__hip_cuid_501b04919784b9e3
	.section	.bss,"aw",@nobits
	.globl	__hip_cuid_501b04919784b9e3
__hip_cuid_501b04919784b9e3:
	.byte	0                               ; 0x0
	.size	__hip_cuid_501b04919784b9e3, 1

	.ident	"AMD clang version 19.0.0git (https://github.com/RadeonOpenCompute/llvm-project roc-6.4.0 25133 c7fe45cf4b819c5991fe208aaa96edf142730f1d)"
	.section	".note.GNU-stack","",@progbits
	.addrsig
	.addrsig_sym __hip_cuid_501b04919784b9e3
	.amdgpu_metadata
---
amdhsa.kernels:
  - .args:
      - .actual_access:  read_only
        .address_space:  global
        .offset:         0
        .size:           8
        .value_kind:     global_buffer
      - .offset:         8
        .size:           8
        .value_kind:     by_value
      - .actual_access:  read_only
        .address_space:  global
        .offset:         16
        .size:           8
        .value_kind:     global_buffer
      - .actual_access:  read_only
        .address_space:  global
        .offset:         24
        .size:           8
        .value_kind:     global_buffer
      - .actual_access:  read_only
        .address_space:  global
        .offset:         32
        .size:           8
        .value_kind:     global_buffer
      - .offset:         40
        .size:           8
        .value_kind:     by_value
      - .actual_access:  read_only
        .address_space:  global
        .offset:         48
        .size:           8
        .value_kind:     global_buffer
      - .actual_access:  read_only
        .address_space:  global
        .offset:         56
        .size:           8
        .value_kind:     global_buffer
      - .offset:         64
        .size:           4
        .value_kind:     by_value
      - .actual_access:  read_only
        .address_space:  global
        .offset:         72
        .size:           8
        .value_kind:     global_buffer
      - .actual_access:  read_only
        .address_space:  global
        .offset:         80
        .size:           8
        .value_kind:     global_buffer
      - .actual_access:  read_only
        .address_space:  global
        .offset:         88
        .size:           8
        .value_kind:     global_buffer
      - .actual_access:  write_only
        .address_space:  global
        .offset:         96
        .size:           8
        .value_kind:     global_buffer
    .group_segment_fixed_size: 0
    .kernarg_segment_align: 8
    .kernarg_segment_size: 104
    .language:       OpenCL C
    .language_version:
      - 2
      - 0
    .max_flat_workgroup_size: 182
    .name:           fft_rtc_fwd_len1820_factors_10_13_7_2_wgs_182_tpt_182_halfLds_sp_op_CI_CI_unitstride_sbrr_R2C_dirReg
    .private_segment_fixed_size: 0
    .sgpr_count:     32
    .sgpr_spill_count: 0
    .symbol:         fft_rtc_fwd_len1820_factors_10_13_7_2_wgs_182_tpt_182_halfLds_sp_op_CI_CI_unitstride_sbrr_R2C_dirReg.kd
    .uniform_work_group_size: 1
    .uses_dynamic_stack: false
    .vgpr_count:     190
    .vgpr_spill_count: 0
    .wavefront_size: 64
amdhsa.target:   amdgcn-amd-amdhsa--gfx906
amdhsa.version:
  - 1
  - 2
...

	.end_amdgpu_metadata
